;; amdgpu-corpus repo=ROCm/rocThrust kind=compiled arch=gfx90a opt=O3
	.text
	.amdgcn_target "amdgcn-amd-amdhsa--gfx90a"
	.amdhsa_code_object_version 6
	.section	.text._ZN6thrust23THRUST_200600_302600_NS11hip_rocprim14__parallel_for6kernelILj256ENS1_20__uninitialized_fill7functorINS0_10device_ptrIiEEiEEmLj1EEEvT0_T1_SA_,"axG",@progbits,_ZN6thrust23THRUST_200600_302600_NS11hip_rocprim14__parallel_for6kernelILj256ENS1_20__uninitialized_fill7functorINS0_10device_ptrIiEEiEEmLj1EEEvT0_T1_SA_,comdat
	.protected	_ZN6thrust23THRUST_200600_302600_NS11hip_rocprim14__parallel_for6kernelILj256ENS1_20__uninitialized_fill7functorINS0_10device_ptrIiEEiEEmLj1EEEvT0_T1_SA_ ; -- Begin function _ZN6thrust23THRUST_200600_302600_NS11hip_rocprim14__parallel_for6kernelILj256ENS1_20__uninitialized_fill7functorINS0_10device_ptrIiEEiEEmLj1EEEvT0_T1_SA_
	.globl	_ZN6thrust23THRUST_200600_302600_NS11hip_rocprim14__parallel_for6kernelILj256ENS1_20__uninitialized_fill7functorINS0_10device_ptrIiEEiEEmLj1EEEvT0_T1_SA_
	.p2align	8
	.type	_ZN6thrust23THRUST_200600_302600_NS11hip_rocprim14__parallel_for6kernelILj256ENS1_20__uninitialized_fill7functorINS0_10device_ptrIiEEiEEmLj1EEEvT0_T1_SA_,@function
_ZN6thrust23THRUST_200600_302600_NS11hip_rocprim14__parallel_for6kernelILj256ENS1_20__uninitialized_fill7functorINS0_10device_ptrIiEEiEEmLj1EEEvT0_T1_SA_: ; @_ZN6thrust23THRUST_200600_302600_NS11hip_rocprim14__parallel_for6kernelILj256ENS1_20__uninitialized_fill7functorINS0_10device_ptrIiEEiEEmLj1EEEvT0_T1_SA_
; %bb.0:
	s_load_dwordx4 s[8:11], s[4:5], 0x10
	s_lshl_b32 s0, s6, 8
	v_mov_b32_e32 v2, 0x100
	v_mov_b32_e32 v3, 0
	s_waitcnt lgkmcnt(0)
	s_add_u32 s0, s0, s10
	s_addc_u32 s1, 0, s11
	s_sub_u32 s2, s8, s0
	s_subb_u32 s3, s9, s1
	v_cmp_lt_u64_e32 vcc, s[2:3], v[2:3]
	s_cbranch_vccz .LBB0_2
; %bb.1:
	v_cmp_gt_u32_e32 vcc, s2, v0
	s_and_b64 s[2:3], vcc, exec
	s_cbranch_execz .LBB0_3
	s_branch .LBB0_4
.LBB0_2:
	s_mov_b64 s[2:3], 0
.LBB0_3:
	s_or_b64 s[2:3], s[2:3], exec
.LBB0_4:
	s_and_saveexec_b64 s[6:7], s[2:3]
	s_cbranch_execnz .LBB0_6
; %bb.5:
	s_endpgm
.LBB0_6:
	s_load_dwordx2 s[2:3], s[4:5], 0x0
	s_load_dword s6, s[4:5], 0x8
	s_lshl_b64 s[0:1], s[0:1], 2
	v_mov_b32_e32 v1, 0
	v_lshlrev_b64 v[0:1], 2, v[0:1]
	s_waitcnt lgkmcnt(0)
	s_add_u32 s0, s2, s0
	s_addc_u32 s1, s3, s1
	v_mov_b32_e32 v2, s1
	v_add_co_u32_e32 v0, vcc, s0, v0
	v_addc_co_u32_e32 v1, vcc, v2, v1, vcc
	v_mov_b32_e32 v2, s6
	flat_store_dword v[0:1], v2
	s_endpgm
	.section	.rodata,"a",@progbits
	.p2align	6, 0x0
	.amdhsa_kernel _ZN6thrust23THRUST_200600_302600_NS11hip_rocprim14__parallel_for6kernelILj256ENS1_20__uninitialized_fill7functorINS0_10device_ptrIiEEiEEmLj1EEEvT0_T1_SA_
		.amdhsa_group_segment_fixed_size 0
		.amdhsa_private_segment_fixed_size 0
		.amdhsa_kernarg_size 32
		.amdhsa_user_sgpr_count 6
		.amdhsa_user_sgpr_private_segment_buffer 1
		.amdhsa_user_sgpr_dispatch_ptr 0
		.amdhsa_user_sgpr_queue_ptr 0
		.amdhsa_user_sgpr_kernarg_segment_ptr 1
		.amdhsa_user_sgpr_dispatch_id 0
		.amdhsa_user_sgpr_flat_scratch_init 0
		.amdhsa_user_sgpr_kernarg_preload_length 0
		.amdhsa_user_sgpr_kernarg_preload_offset 0
		.amdhsa_user_sgpr_private_segment_size 0
		.amdhsa_uses_dynamic_stack 0
		.amdhsa_system_sgpr_private_segment_wavefront_offset 0
		.amdhsa_system_sgpr_workgroup_id_x 1
		.amdhsa_system_sgpr_workgroup_id_y 0
		.amdhsa_system_sgpr_workgroup_id_z 0
		.amdhsa_system_sgpr_workgroup_info 0
		.amdhsa_system_vgpr_workitem_id 0
		.amdhsa_next_free_vgpr 4
		.amdhsa_next_free_sgpr 12
		.amdhsa_accum_offset 4
		.amdhsa_reserve_vcc 1
		.amdhsa_reserve_flat_scratch 0
		.amdhsa_float_round_mode_32 0
		.amdhsa_float_round_mode_16_64 0
		.amdhsa_float_denorm_mode_32 3
		.amdhsa_float_denorm_mode_16_64 3
		.amdhsa_dx10_clamp 1
		.amdhsa_ieee_mode 1
		.amdhsa_fp16_overflow 0
		.amdhsa_tg_split 0
		.amdhsa_exception_fp_ieee_invalid_op 0
		.amdhsa_exception_fp_denorm_src 0
		.amdhsa_exception_fp_ieee_div_zero 0
		.amdhsa_exception_fp_ieee_overflow 0
		.amdhsa_exception_fp_ieee_underflow 0
		.amdhsa_exception_fp_ieee_inexact 0
		.amdhsa_exception_int_div_zero 0
	.end_amdhsa_kernel
	.section	.text._ZN6thrust23THRUST_200600_302600_NS11hip_rocprim14__parallel_for6kernelILj256ENS1_20__uninitialized_fill7functorINS0_10device_ptrIiEEiEEmLj1EEEvT0_T1_SA_,"axG",@progbits,_ZN6thrust23THRUST_200600_302600_NS11hip_rocprim14__parallel_for6kernelILj256ENS1_20__uninitialized_fill7functorINS0_10device_ptrIiEEiEEmLj1EEEvT0_T1_SA_,comdat
.Lfunc_end0:
	.size	_ZN6thrust23THRUST_200600_302600_NS11hip_rocprim14__parallel_for6kernelILj256ENS1_20__uninitialized_fill7functorINS0_10device_ptrIiEEiEEmLj1EEEvT0_T1_SA_, .Lfunc_end0-_ZN6thrust23THRUST_200600_302600_NS11hip_rocprim14__parallel_for6kernelILj256ENS1_20__uninitialized_fill7functorINS0_10device_ptrIiEEiEEmLj1EEEvT0_T1_SA_
                                        ; -- End function
	.section	.AMDGPU.csdata,"",@progbits
; Kernel info:
; codeLenInByte = 160
; NumSgprs: 16
; NumVgprs: 4
; NumAgprs: 0
; TotalNumVgprs: 4
; ScratchSize: 0
; MemoryBound: 0
; FloatMode: 240
; IeeeMode: 1
; LDSByteSize: 0 bytes/workgroup (compile time only)
; SGPRBlocks: 1
; VGPRBlocks: 0
; NumSGPRsForWavesPerEU: 16
; NumVGPRsForWavesPerEU: 4
; AccumOffset: 4
; Occupancy: 8
; WaveLimiterHint : 0
; COMPUTE_PGM_RSRC2:SCRATCH_EN: 0
; COMPUTE_PGM_RSRC2:USER_SGPR: 6
; COMPUTE_PGM_RSRC2:TRAP_HANDLER: 0
; COMPUTE_PGM_RSRC2:TGID_X_EN: 1
; COMPUTE_PGM_RSRC2:TGID_Y_EN: 0
; COMPUTE_PGM_RSRC2:TGID_Z_EN: 0
; COMPUTE_PGM_RSRC2:TIDIG_COMP_CNT: 0
; COMPUTE_PGM_RSRC3_GFX90A:ACCUM_OFFSET: 0
; COMPUTE_PGM_RSRC3_GFX90A:TG_SPLIT: 0
	.section	.text._Z21simple_copy_on_deviceIN6thrust23THRUST_200600_302600_NS6detail15normal_iteratorINS1_10device_ptrIiEEEES6_EvT_S7_T0_,"axG",@progbits,_Z21simple_copy_on_deviceIN6thrust23THRUST_200600_302600_NS6detail15normal_iteratorINS1_10device_ptrIiEEEES6_EvT_S7_T0_,comdat
	.protected	_Z21simple_copy_on_deviceIN6thrust23THRUST_200600_302600_NS6detail15normal_iteratorINS1_10device_ptrIiEEEES6_EvT_S7_T0_ ; -- Begin function _Z21simple_copy_on_deviceIN6thrust23THRUST_200600_302600_NS6detail15normal_iteratorINS1_10device_ptrIiEEEES6_EvT_S7_T0_
	.globl	_Z21simple_copy_on_deviceIN6thrust23THRUST_200600_302600_NS6detail15normal_iteratorINS1_10device_ptrIiEEEES6_EvT_S7_T0_
	.p2align	8
	.type	_Z21simple_copy_on_deviceIN6thrust23THRUST_200600_302600_NS6detail15normal_iteratorINS1_10device_ptrIiEEEES6_EvT_S7_T0_,@function
_Z21simple_copy_on_deviceIN6thrust23THRUST_200600_302600_NS6detail15normal_iteratorINS1_10device_ptrIiEEEES6_EvT_S7_T0_: ; @_Z21simple_copy_on_deviceIN6thrust23THRUST_200600_302600_NS6detail15normal_iteratorINS1_10device_ptrIiEEEES6_EvT_S7_T0_
; %bb.0:
	s_load_dwordx4 s[0:3], s[4:5], 0x0
	s_waitcnt lgkmcnt(0)
	s_cmp_eq_u64 s[0:1], s[2:3]
	s_cbranch_scc1 .LBB1_3
; %bb.1:
	s_load_dwordx2 s[4:5], s[4:5], 0x10
	v_mov_b32_e32 v0, 0
.LBB1_2:                                ; =>This Inner Loop Header: Depth=1
	global_load_dword v1, v0, s[0:1]
	s_add_u32 s6, s0, 4
	s_addc_u32 s7, s1, 0
	s_waitcnt lgkmcnt(0)
	s_add_u32 s8, s4, 4
	s_addc_u32 s9, s5, 0
	s_mov_b64 s[0:1], s[6:7]
	s_cmp_lg_u64 s[6:7], s[2:3]
	s_waitcnt vmcnt(0)
	global_store_dword v0, v1, s[4:5]
	s_mov_b64 s[4:5], s[8:9]
	s_cbranch_scc1 .LBB1_2
.LBB1_3:
	s_endpgm
	.section	.rodata,"a",@progbits
	.p2align	6, 0x0
	.amdhsa_kernel _Z21simple_copy_on_deviceIN6thrust23THRUST_200600_302600_NS6detail15normal_iteratorINS1_10device_ptrIiEEEES6_EvT_S7_T0_
		.amdhsa_group_segment_fixed_size 0
		.amdhsa_private_segment_fixed_size 0
		.amdhsa_kernarg_size 24
		.amdhsa_user_sgpr_count 6
		.amdhsa_user_sgpr_private_segment_buffer 1
		.amdhsa_user_sgpr_dispatch_ptr 0
		.amdhsa_user_sgpr_queue_ptr 0
		.amdhsa_user_sgpr_kernarg_segment_ptr 1
		.amdhsa_user_sgpr_dispatch_id 0
		.amdhsa_user_sgpr_flat_scratch_init 0
		.amdhsa_user_sgpr_kernarg_preload_length 0
		.amdhsa_user_sgpr_kernarg_preload_offset 0
		.amdhsa_user_sgpr_private_segment_size 0
		.amdhsa_uses_dynamic_stack 0
		.amdhsa_system_sgpr_private_segment_wavefront_offset 0
		.amdhsa_system_sgpr_workgroup_id_x 1
		.amdhsa_system_sgpr_workgroup_id_y 0
		.amdhsa_system_sgpr_workgroup_id_z 0
		.amdhsa_system_sgpr_workgroup_info 0
		.amdhsa_system_vgpr_workitem_id 0
		.amdhsa_next_free_vgpr 2
		.amdhsa_next_free_sgpr 10
		.amdhsa_accum_offset 4
		.amdhsa_reserve_vcc 0
		.amdhsa_reserve_flat_scratch 0
		.amdhsa_float_round_mode_32 0
		.amdhsa_float_round_mode_16_64 0
		.amdhsa_float_denorm_mode_32 3
		.amdhsa_float_denorm_mode_16_64 3
		.amdhsa_dx10_clamp 1
		.amdhsa_ieee_mode 1
		.amdhsa_fp16_overflow 0
		.amdhsa_tg_split 0
		.amdhsa_exception_fp_ieee_invalid_op 0
		.amdhsa_exception_fp_denorm_src 0
		.amdhsa_exception_fp_ieee_div_zero 0
		.amdhsa_exception_fp_ieee_overflow 0
		.amdhsa_exception_fp_ieee_underflow 0
		.amdhsa_exception_fp_ieee_inexact 0
		.amdhsa_exception_int_div_zero 0
	.end_amdhsa_kernel
	.section	.text._Z21simple_copy_on_deviceIN6thrust23THRUST_200600_302600_NS6detail15normal_iteratorINS1_10device_ptrIiEEEES6_EvT_S7_T0_,"axG",@progbits,_Z21simple_copy_on_deviceIN6thrust23THRUST_200600_302600_NS6detail15normal_iteratorINS1_10device_ptrIiEEEES6_EvT_S7_T0_,comdat
.Lfunc_end1:
	.size	_Z21simple_copy_on_deviceIN6thrust23THRUST_200600_302600_NS6detail15normal_iteratorINS1_10device_ptrIiEEEES6_EvT_S7_T0_, .Lfunc_end1-_Z21simple_copy_on_deviceIN6thrust23THRUST_200600_302600_NS6detail15normal_iteratorINS1_10device_ptrIiEEEES6_EvT_S7_T0_
                                        ; -- End function
	.section	.AMDGPU.csdata,"",@progbits
; Kernel info:
; codeLenInByte = 92
; NumSgprs: 14
; NumVgprs: 2
; NumAgprs: 0
; TotalNumVgprs: 2
; ScratchSize: 0
; MemoryBound: 0
; FloatMode: 240
; IeeeMode: 1
; LDSByteSize: 0 bytes/workgroup (compile time only)
; SGPRBlocks: 1
; VGPRBlocks: 0
; NumSGPRsForWavesPerEU: 14
; NumVGPRsForWavesPerEU: 2
; AccumOffset: 4
; Occupancy: 8
; WaveLimiterHint : 0
; COMPUTE_PGM_RSRC2:SCRATCH_EN: 0
; COMPUTE_PGM_RSRC2:USER_SGPR: 6
; COMPUTE_PGM_RSRC2:TRAP_HANDLER: 0
; COMPUTE_PGM_RSRC2:TGID_X_EN: 1
; COMPUTE_PGM_RSRC2:TGID_Y_EN: 0
; COMPUTE_PGM_RSRC2:TGID_Z_EN: 0
; COMPUTE_PGM_RSRC2:TIDIG_COMP_CNT: 0
; COMPUTE_PGM_RSRC3_GFX90A:ACCUM_OFFSET: 0
; COMPUTE_PGM_RSRC3_GFX90A:TG_SPLIT: 0
	.section	.text._Z21simple_copy_on_deviceIN6thrust23THRUST_200600_302600_NS10device_ptrIiEES3_EvT_S4_T0_,"axG",@progbits,_Z21simple_copy_on_deviceIN6thrust23THRUST_200600_302600_NS10device_ptrIiEES3_EvT_S4_T0_,comdat
	.protected	_Z21simple_copy_on_deviceIN6thrust23THRUST_200600_302600_NS10device_ptrIiEES3_EvT_S4_T0_ ; -- Begin function _Z21simple_copy_on_deviceIN6thrust23THRUST_200600_302600_NS10device_ptrIiEES3_EvT_S4_T0_
	.globl	_Z21simple_copy_on_deviceIN6thrust23THRUST_200600_302600_NS10device_ptrIiEES3_EvT_S4_T0_
	.p2align	8
	.type	_Z21simple_copy_on_deviceIN6thrust23THRUST_200600_302600_NS10device_ptrIiEES3_EvT_S4_T0_,@function
_Z21simple_copy_on_deviceIN6thrust23THRUST_200600_302600_NS10device_ptrIiEES3_EvT_S4_T0_: ; @_Z21simple_copy_on_deviceIN6thrust23THRUST_200600_302600_NS10device_ptrIiEES3_EvT_S4_T0_
; %bb.0:
	s_load_dwordx4 s[0:3], s[4:5], 0x0
	s_waitcnt lgkmcnt(0)
	s_cmp_eq_u64 s[0:1], s[2:3]
	s_cbranch_scc1 .LBB2_3
; %bb.1:
	s_load_dwordx2 s[4:5], s[4:5], 0x10
	v_mov_b32_e32 v0, 0
.LBB2_2:                                ; =>This Inner Loop Header: Depth=1
	global_load_dword v1, v0, s[0:1]
	s_add_u32 s6, s0, 4
	s_addc_u32 s7, s1, 0
	s_waitcnt lgkmcnt(0)
	s_add_u32 s8, s4, 4
	s_addc_u32 s9, s5, 0
	s_mov_b64 s[0:1], s[6:7]
	s_cmp_lg_u64 s[6:7], s[2:3]
	s_waitcnt vmcnt(0)
	global_store_dword v0, v1, s[4:5]
	s_mov_b64 s[4:5], s[8:9]
	s_cbranch_scc1 .LBB2_2
.LBB2_3:
	s_endpgm
	.section	.rodata,"a",@progbits
	.p2align	6, 0x0
	.amdhsa_kernel _Z21simple_copy_on_deviceIN6thrust23THRUST_200600_302600_NS10device_ptrIiEES3_EvT_S4_T0_
		.amdhsa_group_segment_fixed_size 0
		.amdhsa_private_segment_fixed_size 0
		.amdhsa_kernarg_size 24
		.amdhsa_user_sgpr_count 6
		.amdhsa_user_sgpr_private_segment_buffer 1
		.amdhsa_user_sgpr_dispatch_ptr 0
		.amdhsa_user_sgpr_queue_ptr 0
		.amdhsa_user_sgpr_kernarg_segment_ptr 1
		.amdhsa_user_sgpr_dispatch_id 0
		.amdhsa_user_sgpr_flat_scratch_init 0
		.amdhsa_user_sgpr_kernarg_preload_length 0
		.amdhsa_user_sgpr_kernarg_preload_offset 0
		.amdhsa_user_sgpr_private_segment_size 0
		.amdhsa_uses_dynamic_stack 0
		.amdhsa_system_sgpr_private_segment_wavefront_offset 0
		.amdhsa_system_sgpr_workgroup_id_x 1
		.amdhsa_system_sgpr_workgroup_id_y 0
		.amdhsa_system_sgpr_workgroup_id_z 0
		.amdhsa_system_sgpr_workgroup_info 0
		.amdhsa_system_vgpr_workitem_id 0
		.amdhsa_next_free_vgpr 2
		.amdhsa_next_free_sgpr 10
		.amdhsa_accum_offset 4
		.amdhsa_reserve_vcc 0
		.amdhsa_reserve_flat_scratch 0
		.amdhsa_float_round_mode_32 0
		.amdhsa_float_round_mode_16_64 0
		.amdhsa_float_denorm_mode_32 3
		.amdhsa_float_denorm_mode_16_64 3
		.amdhsa_dx10_clamp 1
		.amdhsa_ieee_mode 1
		.amdhsa_fp16_overflow 0
		.amdhsa_tg_split 0
		.amdhsa_exception_fp_ieee_invalid_op 0
		.amdhsa_exception_fp_denorm_src 0
		.amdhsa_exception_fp_ieee_div_zero 0
		.amdhsa_exception_fp_ieee_overflow 0
		.amdhsa_exception_fp_ieee_underflow 0
		.amdhsa_exception_fp_ieee_inexact 0
		.amdhsa_exception_int_div_zero 0
	.end_amdhsa_kernel
	.section	.text._Z21simple_copy_on_deviceIN6thrust23THRUST_200600_302600_NS10device_ptrIiEES3_EvT_S4_T0_,"axG",@progbits,_Z21simple_copy_on_deviceIN6thrust23THRUST_200600_302600_NS10device_ptrIiEES3_EvT_S4_T0_,comdat
.Lfunc_end2:
	.size	_Z21simple_copy_on_deviceIN6thrust23THRUST_200600_302600_NS10device_ptrIiEES3_EvT_S4_T0_, .Lfunc_end2-_Z21simple_copy_on_deviceIN6thrust23THRUST_200600_302600_NS10device_ptrIiEES3_EvT_S4_T0_
                                        ; -- End function
	.section	.AMDGPU.csdata,"",@progbits
; Kernel info:
; codeLenInByte = 92
; NumSgprs: 14
; NumVgprs: 2
; NumAgprs: 0
; TotalNumVgprs: 2
; ScratchSize: 0
; MemoryBound: 0
; FloatMode: 240
; IeeeMode: 1
; LDSByteSize: 0 bytes/workgroup (compile time only)
; SGPRBlocks: 1
; VGPRBlocks: 0
; NumSGPRsForWavesPerEU: 14
; NumVGPRsForWavesPerEU: 2
; AccumOffset: 4
; Occupancy: 8
; WaveLimiterHint : 0
; COMPUTE_PGM_RSRC2:SCRATCH_EN: 0
; COMPUTE_PGM_RSRC2:USER_SGPR: 6
; COMPUTE_PGM_RSRC2:TRAP_HANDLER: 0
; COMPUTE_PGM_RSRC2:TGID_X_EN: 1
; COMPUTE_PGM_RSRC2:TGID_Y_EN: 0
; COMPUTE_PGM_RSRC2:TGID_Z_EN: 0
; COMPUTE_PGM_RSRC2:TIDIG_COMP_CNT: 0
; COMPUTE_PGM_RSRC3_GFX90A:ACCUM_OFFSET: 0
; COMPUTE_PGM_RSRC3_GFX90A:TG_SPLIT: 0
	.section	.text._Z21simple_copy_on_deviceIN6thrust23THRUST_200600_302600_NS18transform_iteratorINS1_8identityIiEENS1_6detail15normal_iteratorINS1_10device_ptrIiEEEENS1_11use_defaultESA_EES9_EvT_SC_T0_,"axG",@progbits,_Z21simple_copy_on_deviceIN6thrust23THRUST_200600_302600_NS18transform_iteratorINS1_8identityIiEENS1_6detail15normal_iteratorINS1_10device_ptrIiEEEENS1_11use_defaultESA_EES9_EvT_SC_T0_,comdat
	.protected	_Z21simple_copy_on_deviceIN6thrust23THRUST_200600_302600_NS18transform_iteratorINS1_8identityIiEENS1_6detail15normal_iteratorINS1_10device_ptrIiEEEENS1_11use_defaultESA_EES9_EvT_SC_T0_ ; -- Begin function _Z21simple_copy_on_deviceIN6thrust23THRUST_200600_302600_NS18transform_iteratorINS1_8identityIiEENS1_6detail15normal_iteratorINS1_10device_ptrIiEEEENS1_11use_defaultESA_EES9_EvT_SC_T0_
	.globl	_Z21simple_copy_on_deviceIN6thrust23THRUST_200600_302600_NS18transform_iteratorINS1_8identityIiEENS1_6detail15normal_iteratorINS1_10device_ptrIiEEEENS1_11use_defaultESA_EES9_EvT_SC_T0_
	.p2align	8
	.type	_Z21simple_copy_on_deviceIN6thrust23THRUST_200600_302600_NS18transform_iteratorINS1_8identityIiEENS1_6detail15normal_iteratorINS1_10device_ptrIiEEEENS1_11use_defaultESA_EES9_EvT_SC_T0_,@function
_Z21simple_copy_on_deviceIN6thrust23THRUST_200600_302600_NS18transform_iteratorINS1_8identityIiEENS1_6detail15normal_iteratorINS1_10device_ptrIiEEEENS1_11use_defaultESA_EES9_EvT_SC_T0_: ; @_Z21simple_copy_on_deviceIN6thrust23THRUST_200600_302600_NS18transform_iteratorINS1_8identityIiEENS1_6detail15normal_iteratorINS1_10device_ptrIiEEEENS1_11use_defaultESA_EES9_EvT_SC_T0_
; %bb.0:
	s_load_dwordx2 s[6:7], s[4:5], 0x0
	s_load_dwordx2 s[0:1], s[4:5], 0x10
	s_waitcnt lgkmcnt(0)
	s_cmp_eq_u64 s[6:7], s[0:1]
	s_cbranch_scc1 .LBB3_3
; %bb.1:
	s_load_dwordx2 s[2:3], s[4:5], 0x20
	v_mov_b32_e32 v0, 0
.LBB3_2:                                ; =>This Inner Loop Header: Depth=1
	global_load_dword v1, v0, s[6:7]
	s_add_u32 s4, s6, 4
	s_addc_u32 s5, s7, 0
	s_waitcnt lgkmcnt(0)
	s_add_u32 s8, s2, 4
	s_addc_u32 s9, s3, 0
	s_mov_b64 s[6:7], s[4:5]
	s_cmp_lg_u64 s[4:5], s[0:1]
	s_waitcnt vmcnt(0)
	global_store_dword v0, v1, s[2:3]
	s_mov_b64 s[2:3], s[8:9]
	s_cbranch_scc1 .LBB3_2
.LBB3_3:
	s_endpgm
	.section	.rodata,"a",@progbits
	.p2align	6, 0x0
	.amdhsa_kernel _Z21simple_copy_on_deviceIN6thrust23THRUST_200600_302600_NS18transform_iteratorINS1_8identityIiEENS1_6detail15normal_iteratorINS1_10device_ptrIiEEEENS1_11use_defaultESA_EES9_EvT_SC_T0_
		.amdhsa_group_segment_fixed_size 0
		.amdhsa_private_segment_fixed_size 0
		.amdhsa_kernarg_size 40
		.amdhsa_user_sgpr_count 6
		.amdhsa_user_sgpr_private_segment_buffer 1
		.amdhsa_user_sgpr_dispatch_ptr 0
		.amdhsa_user_sgpr_queue_ptr 0
		.amdhsa_user_sgpr_kernarg_segment_ptr 1
		.amdhsa_user_sgpr_dispatch_id 0
		.amdhsa_user_sgpr_flat_scratch_init 0
		.amdhsa_user_sgpr_kernarg_preload_length 0
		.amdhsa_user_sgpr_kernarg_preload_offset 0
		.amdhsa_user_sgpr_private_segment_size 0
		.amdhsa_uses_dynamic_stack 0
		.amdhsa_system_sgpr_private_segment_wavefront_offset 0
		.amdhsa_system_sgpr_workgroup_id_x 1
		.amdhsa_system_sgpr_workgroup_id_y 0
		.amdhsa_system_sgpr_workgroup_id_z 0
		.amdhsa_system_sgpr_workgroup_info 0
		.amdhsa_system_vgpr_workitem_id 0
		.amdhsa_next_free_vgpr 2
		.amdhsa_next_free_sgpr 10
		.amdhsa_accum_offset 4
		.amdhsa_reserve_vcc 0
		.amdhsa_reserve_flat_scratch 0
		.amdhsa_float_round_mode_32 0
		.amdhsa_float_round_mode_16_64 0
		.amdhsa_float_denorm_mode_32 3
		.amdhsa_float_denorm_mode_16_64 3
		.amdhsa_dx10_clamp 1
		.amdhsa_ieee_mode 1
		.amdhsa_fp16_overflow 0
		.amdhsa_tg_split 0
		.amdhsa_exception_fp_ieee_invalid_op 0
		.amdhsa_exception_fp_denorm_src 0
		.amdhsa_exception_fp_ieee_div_zero 0
		.amdhsa_exception_fp_ieee_overflow 0
		.amdhsa_exception_fp_ieee_underflow 0
		.amdhsa_exception_fp_ieee_inexact 0
		.amdhsa_exception_int_div_zero 0
	.end_amdhsa_kernel
	.section	.text._Z21simple_copy_on_deviceIN6thrust23THRUST_200600_302600_NS18transform_iteratorINS1_8identityIiEENS1_6detail15normal_iteratorINS1_10device_ptrIiEEEENS1_11use_defaultESA_EES9_EvT_SC_T0_,"axG",@progbits,_Z21simple_copy_on_deviceIN6thrust23THRUST_200600_302600_NS18transform_iteratorINS1_8identityIiEENS1_6detail15normal_iteratorINS1_10device_ptrIiEEEENS1_11use_defaultESA_EES9_EvT_SC_T0_,comdat
.Lfunc_end3:
	.size	_Z21simple_copy_on_deviceIN6thrust23THRUST_200600_302600_NS18transform_iteratorINS1_8identityIiEENS1_6detail15normal_iteratorINS1_10device_ptrIiEEEENS1_11use_defaultESA_EES9_EvT_SC_T0_, .Lfunc_end3-_Z21simple_copy_on_deviceIN6thrust23THRUST_200600_302600_NS18transform_iteratorINS1_8identityIiEENS1_6detail15normal_iteratorINS1_10device_ptrIiEEEENS1_11use_defaultESA_EES9_EvT_SC_T0_
                                        ; -- End function
	.section	.AMDGPU.csdata,"",@progbits
; Kernel info:
; codeLenInByte = 100
; NumSgprs: 14
; NumVgprs: 2
; NumAgprs: 0
; TotalNumVgprs: 2
; ScratchSize: 0
; MemoryBound: 0
; FloatMode: 240
; IeeeMode: 1
; LDSByteSize: 0 bytes/workgroup (compile time only)
; SGPRBlocks: 1
; VGPRBlocks: 0
; NumSGPRsForWavesPerEU: 14
; NumVGPRsForWavesPerEU: 2
; AccumOffset: 4
; Occupancy: 8
; WaveLimiterHint : 0
; COMPUTE_PGM_RSRC2:SCRATCH_EN: 0
; COMPUTE_PGM_RSRC2:USER_SGPR: 6
; COMPUTE_PGM_RSRC2:TRAP_HANDLER: 0
; COMPUTE_PGM_RSRC2:TGID_X_EN: 1
; COMPUTE_PGM_RSRC2:TGID_Y_EN: 0
; COMPUTE_PGM_RSRC2:TGID_Z_EN: 0
; COMPUTE_PGM_RSRC2:TIDIG_COMP_CNT: 0
; COMPUTE_PGM_RSRC3_GFX90A:ACCUM_OFFSET: 0
; COMPUTE_PGM_RSRC3_GFX90A:TG_SPLIT: 0
	.section	.text._Z21simple_copy_on_deviceIN6thrust23THRUST_200600_302600_NS17counting_iteratorIiNS1_11use_defaultES3_S3_EENS1_6detail15normal_iteratorINS1_10device_ptrIiEEEEEvT_SA_T0_,"axG",@progbits,_Z21simple_copy_on_deviceIN6thrust23THRUST_200600_302600_NS17counting_iteratorIiNS1_11use_defaultES3_S3_EENS1_6detail15normal_iteratorINS1_10device_ptrIiEEEEEvT_SA_T0_,comdat
	.protected	_Z21simple_copy_on_deviceIN6thrust23THRUST_200600_302600_NS17counting_iteratorIiNS1_11use_defaultES3_S3_EENS1_6detail15normal_iteratorINS1_10device_ptrIiEEEEEvT_SA_T0_ ; -- Begin function _Z21simple_copy_on_deviceIN6thrust23THRUST_200600_302600_NS17counting_iteratorIiNS1_11use_defaultES3_S3_EENS1_6detail15normal_iteratorINS1_10device_ptrIiEEEEEvT_SA_T0_
	.globl	_Z21simple_copy_on_deviceIN6thrust23THRUST_200600_302600_NS17counting_iteratorIiNS1_11use_defaultES3_S3_EENS1_6detail15normal_iteratorINS1_10device_ptrIiEEEEEvT_SA_T0_
	.p2align	8
	.type	_Z21simple_copy_on_deviceIN6thrust23THRUST_200600_302600_NS17counting_iteratorIiNS1_11use_defaultES3_S3_EENS1_6detail15normal_iteratorINS1_10device_ptrIiEEEEEvT_SA_T0_,@function
_Z21simple_copy_on_deviceIN6thrust23THRUST_200600_302600_NS17counting_iteratorIiNS1_11use_defaultES3_S3_EENS1_6detail15normal_iteratorINS1_10device_ptrIiEEEEEvT_SA_T0_: ; @_Z21simple_copy_on_deviceIN6thrust23THRUST_200600_302600_NS17counting_iteratorIiNS1_11use_defaultES3_S3_EENS1_6detail15normal_iteratorINS1_10device_ptrIiEEEEEvT_SA_T0_
; %bb.0:
	s_load_dwordx2 s[0:1], s[4:5], 0x0
	s_waitcnt lgkmcnt(0)
	s_cmp_eq_u32 s0, s1
	s_cbranch_scc1 .LBB4_8
; %bb.1:
	s_load_dwordx2 s[2:3], s[4:5], 0x8
	s_not_b32 s6, s0
	s_add_i32 s6, s6, s1
	s_cmp_lt_u32 s6, 3
	s_mov_b64 s[4:5], -1
	s_cbranch_scc1 .LBB4_5
; %bb.2:
	s_add_u32 s4, s6, 1
	s_addc_u32 s5, 0, 0
	s_and_b32 s6, s4, -4
	s_add_i32 s12, s0, 1
	s_mov_b32 s7, s5
	s_waitcnt lgkmcnt(0)
	s_add_u32 s8, s2, 8
	s_mov_b32 s13, s0
	s_addc_u32 s9, s3, 0
	v_mov_b32_e32 v0, 0
	s_mov_b64 s[10:11], s[6:7]
.LBB4_3:                                ; =>This Inner Loop Header: Depth=1
	s_add_i32 s14, s12, 2
	s_add_i32 s15, s13, 2
	v_mov_b32_e32 v2, s13
	v_mov_b32_e32 v3, s12
	s_add_i32 s12, s12, 4
	s_add_i32 s13, s13, 4
	v_mov_b32_e32 v4, s15
	v_mov_b32_e32 v5, s14
	global_store_dwordx4 v0, v[2:5], s[8:9] offset:-8
	s_add_u32 s8, s8, 16
	s_addc_u32 s9, s9, 0
	s_add_u32 s10, s10, -4
	s_addc_u32 s11, s11, -1
	s_cmp_lg_u64 s[10:11], 0
	s_cbranch_scc1 .LBB4_3
; %bb.4:
	s_add_i32 s0, s6, s0
	s_lshl_b64 s[8:9], s[6:7], 2
	s_add_u32 s2, s2, s8
	s_addc_u32 s3, s3, s9
	s_cmp_lg_u64 s[4:5], s[6:7]
	s_cselect_b64 s[4:5], -1, 0
.LBB4_5:
	s_and_b64 vcc, exec, s[4:5]
	s_cbranch_vccz .LBB4_8
; %bb.6:
	v_mov_b32_e32 v0, 0
.LBB4_7:                                ; =>This Inner Loop Header: Depth=1
	s_add_i32 s6, s0, 1
	s_waitcnt lgkmcnt(0)
	s_add_u32 s4, s2, 4
	v_mov_b32_e32 v1, s0
	s_addc_u32 s5, s3, 0
	global_store_dword v0, v1, s[2:3]
	s_mov_b32 s0, s6
	s_cmp_lg_u32 s1, s6
	s_mov_b64 s[2:3], s[4:5]
	s_cbranch_scc1 .LBB4_7
.LBB4_8:
	s_endpgm
	.section	.rodata,"a",@progbits
	.p2align	6, 0x0
	.amdhsa_kernel _Z21simple_copy_on_deviceIN6thrust23THRUST_200600_302600_NS17counting_iteratorIiNS1_11use_defaultES3_S3_EENS1_6detail15normal_iteratorINS1_10device_ptrIiEEEEEvT_SA_T0_
		.amdhsa_group_segment_fixed_size 0
		.amdhsa_private_segment_fixed_size 0
		.amdhsa_kernarg_size 16
		.amdhsa_user_sgpr_count 6
		.amdhsa_user_sgpr_private_segment_buffer 1
		.amdhsa_user_sgpr_dispatch_ptr 0
		.amdhsa_user_sgpr_queue_ptr 0
		.amdhsa_user_sgpr_kernarg_segment_ptr 1
		.amdhsa_user_sgpr_dispatch_id 0
		.amdhsa_user_sgpr_flat_scratch_init 0
		.amdhsa_user_sgpr_kernarg_preload_length 0
		.amdhsa_user_sgpr_kernarg_preload_offset 0
		.amdhsa_user_sgpr_private_segment_size 0
		.amdhsa_uses_dynamic_stack 0
		.amdhsa_system_sgpr_private_segment_wavefront_offset 0
		.amdhsa_system_sgpr_workgroup_id_x 1
		.amdhsa_system_sgpr_workgroup_id_y 0
		.amdhsa_system_sgpr_workgroup_id_z 0
		.amdhsa_system_sgpr_workgroup_info 0
		.amdhsa_system_vgpr_workitem_id 0
		.amdhsa_next_free_vgpr 6
		.amdhsa_next_free_sgpr 16
		.amdhsa_accum_offset 8
		.amdhsa_reserve_vcc 1
		.amdhsa_reserve_flat_scratch 0
		.amdhsa_float_round_mode_32 0
		.amdhsa_float_round_mode_16_64 0
		.amdhsa_float_denorm_mode_32 3
		.amdhsa_float_denorm_mode_16_64 3
		.amdhsa_dx10_clamp 1
		.amdhsa_ieee_mode 1
		.amdhsa_fp16_overflow 0
		.amdhsa_tg_split 0
		.amdhsa_exception_fp_ieee_invalid_op 0
		.amdhsa_exception_fp_denorm_src 0
		.amdhsa_exception_fp_ieee_div_zero 0
		.amdhsa_exception_fp_ieee_overflow 0
		.amdhsa_exception_fp_ieee_underflow 0
		.amdhsa_exception_fp_ieee_inexact 0
		.amdhsa_exception_int_div_zero 0
	.end_amdhsa_kernel
	.section	.text._Z21simple_copy_on_deviceIN6thrust23THRUST_200600_302600_NS17counting_iteratorIiNS1_11use_defaultES3_S3_EENS1_6detail15normal_iteratorINS1_10device_ptrIiEEEEEvT_SA_T0_,"axG",@progbits,_Z21simple_copy_on_deviceIN6thrust23THRUST_200600_302600_NS17counting_iteratorIiNS1_11use_defaultES3_S3_EENS1_6detail15normal_iteratorINS1_10device_ptrIiEEEEEvT_SA_T0_,comdat
.Lfunc_end4:
	.size	_Z21simple_copy_on_deviceIN6thrust23THRUST_200600_302600_NS17counting_iteratorIiNS1_11use_defaultES3_S3_EENS1_6detail15normal_iteratorINS1_10device_ptrIiEEEEEvT_SA_T0_, .Lfunc_end4-_Z21simple_copy_on_deviceIN6thrust23THRUST_200600_302600_NS17counting_iteratorIiNS1_11use_defaultES3_S3_EENS1_6detail15normal_iteratorINS1_10device_ptrIiEEEEEvT_SA_T0_
                                        ; -- End function
	.section	.AMDGPU.csdata,"",@progbits
; Kernel info:
; codeLenInByte = 240
; NumSgprs: 20
; NumVgprs: 6
; NumAgprs: 0
; TotalNumVgprs: 6
; ScratchSize: 0
; MemoryBound: 0
; FloatMode: 240
; IeeeMode: 1
; LDSByteSize: 0 bytes/workgroup (compile time only)
; SGPRBlocks: 2
; VGPRBlocks: 0
; NumSGPRsForWavesPerEU: 20
; NumVGPRsForWavesPerEU: 6
; AccumOffset: 8
; Occupancy: 8
; WaveLimiterHint : 0
; COMPUTE_PGM_RSRC2:SCRATCH_EN: 0
; COMPUTE_PGM_RSRC2:USER_SGPR: 6
; COMPUTE_PGM_RSRC2:TRAP_HANDLER: 0
; COMPUTE_PGM_RSRC2:TGID_X_EN: 1
; COMPUTE_PGM_RSRC2:TGID_Y_EN: 0
; COMPUTE_PGM_RSRC2:TGID_Z_EN: 0
; COMPUTE_PGM_RSRC2:TIDIG_COMP_CNT: 0
; COMPUTE_PGM_RSRC3_GFX90A:ACCUM_OFFSET: 1
; COMPUTE_PGM_RSRC3_GFX90A:TG_SPLIT: 0
	.section	.text._Z21simple_copy_on_deviceIN6thrust23THRUST_200600_302600_NS18transform_iteratorINS1_6negateIiEENS1_17counting_iteratorIiNS1_11use_defaultES6_S6_EES6_S6_EENS1_6detail15normal_iteratorINS1_10device_ptrIiEEEEEvT_SE_T0_,"axG",@progbits,_Z21simple_copy_on_deviceIN6thrust23THRUST_200600_302600_NS18transform_iteratorINS1_6negateIiEENS1_17counting_iteratorIiNS1_11use_defaultES6_S6_EES6_S6_EENS1_6detail15normal_iteratorINS1_10device_ptrIiEEEEEvT_SE_T0_,comdat
	.protected	_Z21simple_copy_on_deviceIN6thrust23THRUST_200600_302600_NS18transform_iteratorINS1_6negateIiEENS1_17counting_iteratorIiNS1_11use_defaultES6_S6_EES6_S6_EENS1_6detail15normal_iteratorINS1_10device_ptrIiEEEEEvT_SE_T0_ ; -- Begin function _Z21simple_copy_on_deviceIN6thrust23THRUST_200600_302600_NS18transform_iteratorINS1_6negateIiEENS1_17counting_iteratorIiNS1_11use_defaultES6_S6_EES6_S6_EENS1_6detail15normal_iteratorINS1_10device_ptrIiEEEEEvT_SE_T0_
	.globl	_Z21simple_copy_on_deviceIN6thrust23THRUST_200600_302600_NS18transform_iteratorINS1_6negateIiEENS1_17counting_iteratorIiNS1_11use_defaultES6_S6_EES6_S6_EENS1_6detail15normal_iteratorINS1_10device_ptrIiEEEEEvT_SE_T0_
	.p2align	8
	.type	_Z21simple_copy_on_deviceIN6thrust23THRUST_200600_302600_NS18transform_iteratorINS1_6negateIiEENS1_17counting_iteratorIiNS1_11use_defaultES6_S6_EES6_S6_EENS1_6detail15normal_iteratorINS1_10device_ptrIiEEEEEvT_SE_T0_,@function
_Z21simple_copy_on_deviceIN6thrust23THRUST_200600_302600_NS18transform_iteratorINS1_6negateIiEENS1_17counting_iteratorIiNS1_11use_defaultES6_S6_EES6_S6_EENS1_6detail15normal_iteratorINS1_10device_ptrIiEEEEEvT_SE_T0_: ; @_Z21simple_copy_on_deviceIN6thrust23THRUST_200600_302600_NS18transform_iteratorINS1_6negateIiEENS1_17counting_iteratorIiNS1_11use_defaultES6_S6_EES6_S6_EENS1_6detail15normal_iteratorINS1_10device_ptrIiEEEEEvT_SE_T0_
; %bb.0:
	s_load_dwordx4 s[0:3], s[4:5], 0x0
	s_waitcnt lgkmcnt(0)
	s_cmp_eq_u32 s0, s2
	s_cbranch_scc1 .LBB5_8
; %bb.1:
	s_load_dwordx2 s[4:5], s[4:5], 0x10
	s_not_b32 s1, s0
	s_add_i32 s1, s2, s1
	s_cmp_eq_u32 s1, 0
	s_cbranch_scc1 .LBB5_5
; %bb.2:
	s_add_u32 s6, s1, 1
	s_addc_u32 s7, 0, 0
	s_and_b32 s8, s6, -2
	s_mov_b32 s9, s7
	s_add_i32 s1, s0, 1
	v_mov_b32_e32 v0, 0
	s_mov_b64 s[10:11], s[8:9]
	s_waitcnt lgkmcnt(0)
	s_mov_b64 s[12:13], s[4:5]
	s_mov_b64 s[14:15], s[0:1]
.LBB5_3:                                ; =>This Inner Loop Header: Depth=1
	s_sub_i32 s1, 0, s15
	s_sub_i32 s3, 0, s14
	s_add_i32 s15, s15, 2
	s_add_i32 s14, s14, 2
	v_mov_b32_e32 v2, s3
	v_mov_b32_e32 v3, s1
	global_store_dwordx2 v0, v[2:3], s[12:13]
	s_add_u32 s12, s12, 8
	s_addc_u32 s13, s13, 0
	s_add_u32 s10, s10, -2
	s_addc_u32 s11, s11, -1
	s_cmp_lg_u64 s[10:11], 0
	s_cbranch_scc1 .LBB5_3
; %bb.4:
	s_add_i32 s0, s0, s8
	s_lshl_b64 s[10:11], s[8:9], 2
	s_add_u32 s4, s4, s10
	s_addc_u32 s5, s5, s11
	s_cmp_lg_u64 s[6:7], s[8:9]
	s_cselect_b64 s[6:7], -1, 0
	s_and_b64 vcc, exec, s[6:7]
	s_cbranch_vccnz .LBB5_6
	s_branch .LBB5_8
.LBB5_5:
	s_cbranch_execz .LBB5_8
.LBB5_6:
	s_sub_i32 s1, 0, s2
	s_sub_i32 s0, 0, s0
	v_mov_b32_e32 v0, 0
.LBB5_7:                                ; =>This Inner Loop Header: Depth=1
	s_waitcnt lgkmcnt(0)
	s_add_u32 s2, s4, 4
	s_addc_u32 s3, s5, 0
	v_mov_b32_e32 v1, s0
	s_add_i32 s0, s0, -1
	global_store_dword v0, v1, s[4:5]
	s_cmp_lg_u32 s1, s0
	s_mov_b64 s[4:5], s[2:3]
	s_cbranch_scc1 .LBB5_7
.LBB5_8:
	s_endpgm
	.section	.rodata,"a",@progbits
	.p2align	6, 0x0
	.amdhsa_kernel _Z21simple_copy_on_deviceIN6thrust23THRUST_200600_302600_NS18transform_iteratorINS1_6negateIiEENS1_17counting_iteratorIiNS1_11use_defaultES6_S6_EES6_S6_EENS1_6detail15normal_iteratorINS1_10device_ptrIiEEEEEvT_SE_T0_
		.amdhsa_group_segment_fixed_size 0
		.amdhsa_private_segment_fixed_size 0
		.amdhsa_kernarg_size 24
		.amdhsa_user_sgpr_count 6
		.amdhsa_user_sgpr_private_segment_buffer 1
		.amdhsa_user_sgpr_dispatch_ptr 0
		.amdhsa_user_sgpr_queue_ptr 0
		.amdhsa_user_sgpr_kernarg_segment_ptr 1
		.amdhsa_user_sgpr_dispatch_id 0
		.amdhsa_user_sgpr_flat_scratch_init 0
		.amdhsa_user_sgpr_kernarg_preload_length 0
		.amdhsa_user_sgpr_kernarg_preload_offset 0
		.amdhsa_user_sgpr_private_segment_size 0
		.amdhsa_uses_dynamic_stack 0
		.amdhsa_system_sgpr_private_segment_wavefront_offset 0
		.amdhsa_system_sgpr_workgroup_id_x 1
		.amdhsa_system_sgpr_workgroup_id_y 0
		.amdhsa_system_sgpr_workgroup_id_z 0
		.amdhsa_system_sgpr_workgroup_info 0
		.amdhsa_system_vgpr_workitem_id 0
		.amdhsa_next_free_vgpr 4
		.amdhsa_next_free_sgpr 16
		.amdhsa_accum_offset 4
		.amdhsa_reserve_vcc 1
		.amdhsa_reserve_flat_scratch 0
		.amdhsa_float_round_mode_32 0
		.amdhsa_float_round_mode_16_64 0
		.amdhsa_float_denorm_mode_32 3
		.amdhsa_float_denorm_mode_16_64 3
		.amdhsa_dx10_clamp 1
		.amdhsa_ieee_mode 1
		.amdhsa_fp16_overflow 0
		.amdhsa_tg_split 0
		.amdhsa_exception_fp_ieee_invalid_op 0
		.amdhsa_exception_fp_denorm_src 0
		.amdhsa_exception_fp_ieee_div_zero 0
		.amdhsa_exception_fp_ieee_overflow 0
		.amdhsa_exception_fp_ieee_underflow 0
		.amdhsa_exception_fp_ieee_inexact 0
		.amdhsa_exception_int_div_zero 0
	.end_amdhsa_kernel
	.section	.text._Z21simple_copy_on_deviceIN6thrust23THRUST_200600_302600_NS18transform_iteratorINS1_6negateIiEENS1_17counting_iteratorIiNS1_11use_defaultES6_S6_EES6_S6_EENS1_6detail15normal_iteratorINS1_10device_ptrIiEEEEEvT_SE_T0_,"axG",@progbits,_Z21simple_copy_on_deviceIN6thrust23THRUST_200600_302600_NS18transform_iteratorINS1_6negateIiEENS1_17counting_iteratorIiNS1_11use_defaultES6_S6_EES6_S6_EENS1_6detail15normal_iteratorINS1_10device_ptrIiEEEEEvT_SE_T0_,comdat
.Lfunc_end5:
	.size	_Z21simple_copy_on_deviceIN6thrust23THRUST_200600_302600_NS18transform_iteratorINS1_6negateIiEENS1_17counting_iteratorIiNS1_11use_defaultES6_S6_EES6_S6_EENS1_6detail15normal_iteratorINS1_10device_ptrIiEEEEEvT_SE_T0_, .Lfunc_end5-_Z21simple_copy_on_deviceIN6thrust23THRUST_200600_302600_NS18transform_iteratorINS1_6negateIiEENS1_17counting_iteratorIiNS1_11use_defaultES6_S6_EES6_S6_EENS1_6detail15normal_iteratorINS1_10device_ptrIiEEEEEvT_SE_T0_
                                        ; -- End function
	.section	.AMDGPU.csdata,"",@progbits
; Kernel info:
; codeLenInByte = 236
; NumSgprs: 20
; NumVgprs: 4
; NumAgprs: 0
; TotalNumVgprs: 4
; ScratchSize: 0
; MemoryBound: 0
; FloatMode: 240
; IeeeMode: 1
; LDSByteSize: 0 bytes/workgroup (compile time only)
; SGPRBlocks: 2
; VGPRBlocks: 0
; NumSGPRsForWavesPerEU: 20
; NumVGPRsForWavesPerEU: 4
; AccumOffset: 4
; Occupancy: 8
; WaveLimiterHint : 0
; COMPUTE_PGM_RSRC2:SCRATCH_EN: 0
; COMPUTE_PGM_RSRC2:USER_SGPR: 6
; COMPUTE_PGM_RSRC2:TRAP_HANDLER: 0
; COMPUTE_PGM_RSRC2:TGID_X_EN: 1
; COMPUTE_PGM_RSRC2:TGID_Y_EN: 0
; COMPUTE_PGM_RSRC2:TGID_Z_EN: 0
; COMPUTE_PGM_RSRC2:TIDIG_COMP_CNT: 0
; COMPUTE_PGM_RSRC3_GFX90A:ACCUM_OFFSET: 0
; COMPUTE_PGM_RSRC3_GFX90A:TG_SPLIT: 0
	.text
	.p2alignl 6, 3212836864
	.fill 256, 4, 3212836864
	.type	__hip_cuid_18260841ee6c73c3,@object ; @__hip_cuid_18260841ee6c73c3
	.section	.bss,"aw",@nobits
	.globl	__hip_cuid_18260841ee6c73c3
__hip_cuid_18260841ee6c73c3:
	.byte	0                               ; 0x0
	.size	__hip_cuid_18260841ee6c73c3, 1

	.ident	"AMD clang version 19.0.0git (https://github.com/RadeonOpenCompute/llvm-project roc-6.4.0 25133 c7fe45cf4b819c5991fe208aaa96edf142730f1d)"
	.section	".note.GNU-stack","",@progbits
	.addrsig
	.addrsig_sym __hip_cuid_18260841ee6c73c3
	.amdgpu_metadata
---
amdhsa.kernels:
  - .agpr_count:     0
    .args:
      - .offset:         0
        .size:           16
        .value_kind:     by_value
      - .offset:         16
        .size:           8
        .value_kind:     by_value
      - .offset:         24
        .size:           8
        .value_kind:     by_value
    .group_segment_fixed_size: 0
    .kernarg_segment_align: 8
    .kernarg_segment_size: 32
    .language:       OpenCL C
    .language_version:
      - 2
      - 0
    .max_flat_workgroup_size: 256
    .name:           _ZN6thrust23THRUST_200600_302600_NS11hip_rocprim14__parallel_for6kernelILj256ENS1_20__uninitialized_fill7functorINS0_10device_ptrIiEEiEEmLj1EEEvT0_T1_SA_
    .private_segment_fixed_size: 0
    .sgpr_count:     16
    .sgpr_spill_count: 0
    .symbol:         _ZN6thrust23THRUST_200600_302600_NS11hip_rocprim14__parallel_for6kernelILj256ENS1_20__uninitialized_fill7functorINS0_10device_ptrIiEEiEEmLj1EEEvT0_T1_SA_.kd
    .uniform_work_group_size: 1
    .uses_dynamic_stack: false
    .vgpr_count:     4
    .vgpr_spill_count: 0
    .wavefront_size: 64
  - .agpr_count:     0
    .args:
      - .address_space:  global
        .offset:         0
        .size:           8
        .value_kind:     global_buffer
      - .address_space:  global
        .offset:         8
        .size:           8
        .value_kind:     global_buffer
      - .address_space:  global
        .offset:         16
        .size:           8
        .value_kind:     global_buffer
    .group_segment_fixed_size: 0
    .kernarg_segment_align: 8
    .kernarg_segment_size: 24
    .language:       OpenCL C
    .language_version:
      - 2
      - 0
    .max_flat_workgroup_size: 256
    .name:           _Z21simple_copy_on_deviceIN6thrust23THRUST_200600_302600_NS6detail15normal_iteratorINS1_10device_ptrIiEEEES6_EvT_S7_T0_
    .private_segment_fixed_size: 0
    .sgpr_count:     14
    .sgpr_spill_count: 0
    .symbol:         _Z21simple_copy_on_deviceIN6thrust23THRUST_200600_302600_NS6detail15normal_iteratorINS1_10device_ptrIiEEEES6_EvT_S7_T0_.kd
    .uniform_work_group_size: 1
    .uses_dynamic_stack: false
    .vgpr_count:     2
    .vgpr_spill_count: 0
    .wavefront_size: 64
  - .agpr_count:     0
    .args:
      - .address_space:  global
        .offset:         0
        .size:           8
        .value_kind:     global_buffer
      - .address_space:  global
        .offset:         8
        .size:           8
        .value_kind:     global_buffer
      - .address_space:  global
        .offset:         16
        .size:           8
        .value_kind:     global_buffer
    .group_segment_fixed_size: 0
    .kernarg_segment_align: 8
    .kernarg_segment_size: 24
    .language:       OpenCL C
    .language_version:
      - 2
      - 0
    .max_flat_workgroup_size: 256
    .name:           _Z21simple_copy_on_deviceIN6thrust23THRUST_200600_302600_NS10device_ptrIiEES3_EvT_S4_T0_
    .private_segment_fixed_size: 0
    .sgpr_count:     14
    .sgpr_spill_count: 0
    .symbol:         _Z21simple_copy_on_deviceIN6thrust23THRUST_200600_302600_NS10device_ptrIiEES3_EvT_S4_T0_.kd
    .uniform_work_group_size: 1
    .uses_dynamic_stack: false
    .vgpr_count:     2
    .vgpr_spill_count: 0
    .wavefront_size: 64
  - .agpr_count:     0
    .args:
      - .offset:         0
        .size:           16
        .value_kind:     by_value
      - .offset:         16
        .size:           16
        .value_kind:     by_value
      - .address_space:  global
        .offset:         32
        .size:           8
        .value_kind:     global_buffer
    .group_segment_fixed_size: 0
    .kernarg_segment_align: 8
    .kernarg_segment_size: 40
    .language:       OpenCL C
    .language_version:
      - 2
      - 0
    .max_flat_workgroup_size: 256
    .name:           _Z21simple_copy_on_deviceIN6thrust23THRUST_200600_302600_NS18transform_iteratorINS1_8identityIiEENS1_6detail15normal_iteratorINS1_10device_ptrIiEEEENS1_11use_defaultESA_EES9_EvT_SC_T0_
    .private_segment_fixed_size: 0
    .sgpr_count:     14
    .sgpr_spill_count: 0
    .symbol:         _Z21simple_copy_on_deviceIN6thrust23THRUST_200600_302600_NS18transform_iteratorINS1_8identityIiEENS1_6detail15normal_iteratorINS1_10device_ptrIiEEEENS1_11use_defaultESA_EES9_EvT_SC_T0_.kd
    .uniform_work_group_size: 1
    .uses_dynamic_stack: false
    .vgpr_count:     2
    .vgpr_spill_count: 0
    .wavefront_size: 64
  - .agpr_count:     0
    .args:
      - .offset:         0
        .size:           4
        .value_kind:     by_value
      - .offset:         4
        .size:           4
        .value_kind:     by_value
      - .address_space:  global
        .offset:         8
        .size:           8
        .value_kind:     global_buffer
    .group_segment_fixed_size: 0
    .kernarg_segment_align: 8
    .kernarg_segment_size: 16
    .language:       OpenCL C
    .language_version:
      - 2
      - 0
    .max_flat_workgroup_size: 256
    .name:           _Z21simple_copy_on_deviceIN6thrust23THRUST_200600_302600_NS17counting_iteratorIiNS1_11use_defaultES3_S3_EENS1_6detail15normal_iteratorINS1_10device_ptrIiEEEEEvT_SA_T0_
    .private_segment_fixed_size: 0
    .sgpr_count:     20
    .sgpr_spill_count: 0
    .symbol:         _Z21simple_copy_on_deviceIN6thrust23THRUST_200600_302600_NS17counting_iteratorIiNS1_11use_defaultES3_S3_EENS1_6detail15normal_iteratorINS1_10device_ptrIiEEEEEvT_SA_T0_.kd
    .uniform_work_group_size: 1
    .uses_dynamic_stack: false
    .vgpr_count:     6
    .vgpr_spill_count: 0
    .wavefront_size: 64
  - .agpr_count:     0
    .args:
      - .offset:         0
        .size:           8
        .value_kind:     by_value
      - .offset:         8
        .size:           8
        .value_kind:     by_value
      - .address_space:  global
        .offset:         16
        .size:           8
        .value_kind:     global_buffer
    .group_segment_fixed_size: 0
    .kernarg_segment_align: 8
    .kernarg_segment_size: 24
    .language:       OpenCL C
    .language_version:
      - 2
      - 0
    .max_flat_workgroup_size: 256
    .name:           _Z21simple_copy_on_deviceIN6thrust23THRUST_200600_302600_NS18transform_iteratorINS1_6negateIiEENS1_17counting_iteratorIiNS1_11use_defaultES6_S6_EES6_S6_EENS1_6detail15normal_iteratorINS1_10device_ptrIiEEEEEvT_SE_T0_
    .private_segment_fixed_size: 0
    .sgpr_count:     20
    .sgpr_spill_count: 0
    .symbol:         _Z21simple_copy_on_deviceIN6thrust23THRUST_200600_302600_NS18transform_iteratorINS1_6negateIiEENS1_17counting_iteratorIiNS1_11use_defaultES6_S6_EES6_S6_EENS1_6detail15normal_iteratorINS1_10device_ptrIiEEEEEvT_SE_T0_.kd
    .uniform_work_group_size: 1
    .uses_dynamic_stack: false
    .vgpr_count:     4
    .vgpr_spill_count: 0
    .wavefront_size: 64
amdhsa.target:   amdgcn-amd-amdhsa--gfx90a
amdhsa.version:
  - 1
  - 2
...

	.end_amdgpu_metadata
